;; amdgpu-corpus repo=ROCm/rocFFT kind=compiled arch=gfx906 opt=O3
	.text
	.amdgcn_target "amdgcn-amd-amdhsa--gfx906"
	.amdhsa_code_object_version 6
	.protected	fft_rtc_back_len1560_factors_13_2_2_10_3_wgs_156_tpt_156_half_ip_CI_unitstride_sbrr_C2R_dirReg ; -- Begin function fft_rtc_back_len1560_factors_13_2_2_10_3_wgs_156_tpt_156_half_ip_CI_unitstride_sbrr_C2R_dirReg
	.globl	fft_rtc_back_len1560_factors_13_2_2_10_3_wgs_156_tpt_156_half_ip_CI_unitstride_sbrr_C2R_dirReg
	.p2align	8
	.type	fft_rtc_back_len1560_factors_13_2_2_10_3_wgs_156_tpt_156_half_ip_CI_unitstride_sbrr_C2R_dirReg,@function
fft_rtc_back_len1560_factors_13_2_2_10_3_wgs_156_tpt_156_half_ip_CI_unitstride_sbrr_C2R_dirReg: ; @fft_rtc_back_len1560_factors_13_2_2_10_3_wgs_156_tpt_156_half_ip_CI_unitstride_sbrr_C2R_dirReg
; %bb.0:
	s_load_dwordx2 s[12:13], s[4:5], 0x50
	s_load_dwordx4 s[8:11], s[4:5], 0x0
	s_load_dwordx2 s[2:3], s[4:5], 0x18
	v_mul_u32_u24_e32 v1, 0x1a5, v0
	v_add_u32_sdwa v5, s6, v1 dst_sel:DWORD dst_unused:UNUSED_PAD src0_sel:DWORD src1_sel:WORD_1
	v_mov_b32_e32 v3, 0
	s_waitcnt lgkmcnt(0)
	v_cmp_lt_u64_e64 s[0:1], s[10:11], 2
	v_mov_b32_e32 v1, 0
	v_mov_b32_e32 v6, v3
	s_and_b64 vcc, exec, s[0:1]
	v_mov_b32_e32 v2, 0
	s_cbranch_vccnz .LBB0_8
; %bb.1:
	s_load_dwordx2 s[0:1], s[4:5], 0x10
	s_add_u32 s6, s2, 8
	s_addc_u32 s7, s3, 0
	v_mov_b32_e32 v1, 0
	v_mov_b32_e32 v2, 0
	s_waitcnt lgkmcnt(0)
	s_add_u32 s14, s0, 8
	s_addc_u32 s15, s1, 0
	s_mov_b64 s[16:17], 1
.LBB0_2:                                ; =>This Inner Loop Header: Depth=1
	s_load_dwordx2 s[18:19], s[14:15], 0x0
                                        ; implicit-def: $vgpr7_vgpr8
	s_waitcnt lgkmcnt(0)
	v_or_b32_e32 v4, s19, v6
	v_cmp_ne_u64_e32 vcc, 0, v[3:4]
	s_and_saveexec_b64 s[0:1], vcc
	s_xor_b64 s[20:21], exec, s[0:1]
	s_cbranch_execz .LBB0_4
; %bb.3:                                ;   in Loop: Header=BB0_2 Depth=1
	v_cvt_f32_u32_e32 v4, s18
	v_cvt_f32_u32_e32 v7, s19
	s_sub_u32 s0, 0, s18
	s_subb_u32 s1, 0, s19
	v_mac_f32_e32 v4, 0x4f800000, v7
	v_rcp_f32_e32 v4, v4
	v_mul_f32_e32 v4, 0x5f7ffffc, v4
	v_mul_f32_e32 v7, 0x2f800000, v4
	v_trunc_f32_e32 v7, v7
	v_mac_f32_e32 v4, 0xcf800000, v7
	v_cvt_u32_f32_e32 v7, v7
	v_cvt_u32_f32_e32 v4, v4
	v_mul_lo_u32 v8, s0, v7
	v_mul_hi_u32 v9, s0, v4
	v_mul_lo_u32 v11, s1, v4
	v_mul_lo_u32 v10, s0, v4
	v_add_u32_e32 v8, v9, v8
	v_add_u32_e32 v8, v8, v11
	v_mul_hi_u32 v9, v4, v10
	v_mul_lo_u32 v11, v4, v8
	v_mul_hi_u32 v13, v4, v8
	v_mul_hi_u32 v12, v7, v10
	v_mul_lo_u32 v10, v7, v10
	v_mul_hi_u32 v14, v7, v8
	v_add_co_u32_e32 v9, vcc, v9, v11
	v_addc_co_u32_e32 v11, vcc, 0, v13, vcc
	v_mul_lo_u32 v8, v7, v8
	v_add_co_u32_e32 v9, vcc, v9, v10
	v_addc_co_u32_e32 v9, vcc, v11, v12, vcc
	v_addc_co_u32_e32 v10, vcc, 0, v14, vcc
	v_add_co_u32_e32 v8, vcc, v9, v8
	v_addc_co_u32_e32 v9, vcc, 0, v10, vcc
	v_add_co_u32_e32 v4, vcc, v4, v8
	v_addc_co_u32_e32 v7, vcc, v7, v9, vcc
	v_mul_lo_u32 v8, s0, v7
	v_mul_hi_u32 v9, s0, v4
	v_mul_lo_u32 v10, s1, v4
	v_mul_lo_u32 v11, s0, v4
	v_add_u32_e32 v8, v9, v8
	v_add_u32_e32 v8, v8, v10
	v_mul_lo_u32 v12, v4, v8
	v_mul_hi_u32 v13, v4, v11
	v_mul_hi_u32 v14, v4, v8
	;; [unrolled: 1-line block ×3, first 2 shown]
	v_mul_lo_u32 v11, v7, v11
	v_mul_hi_u32 v9, v7, v8
	v_add_co_u32_e32 v12, vcc, v13, v12
	v_addc_co_u32_e32 v13, vcc, 0, v14, vcc
	v_mul_lo_u32 v8, v7, v8
	v_add_co_u32_e32 v11, vcc, v12, v11
	v_addc_co_u32_e32 v10, vcc, v13, v10, vcc
	v_addc_co_u32_e32 v9, vcc, 0, v9, vcc
	v_add_co_u32_e32 v8, vcc, v10, v8
	v_addc_co_u32_e32 v9, vcc, 0, v9, vcc
	v_add_co_u32_e32 v4, vcc, v4, v8
	v_addc_co_u32_e32 v9, vcc, v7, v9, vcc
	v_mad_u64_u32 v[7:8], s[0:1], v5, v9, 0
	v_mul_hi_u32 v10, v5, v4
	v_add_co_u32_e32 v11, vcc, v10, v7
	v_addc_co_u32_e32 v12, vcc, 0, v8, vcc
	v_mad_u64_u32 v[7:8], s[0:1], v6, v4, 0
	v_mad_u64_u32 v[9:10], s[0:1], v6, v9, 0
	v_add_co_u32_e32 v4, vcc, v11, v7
	v_addc_co_u32_e32 v4, vcc, v12, v8, vcc
	v_addc_co_u32_e32 v7, vcc, 0, v10, vcc
	v_add_co_u32_e32 v4, vcc, v4, v9
	v_addc_co_u32_e32 v9, vcc, 0, v7, vcc
	v_mul_lo_u32 v10, s19, v4
	v_mul_lo_u32 v11, s18, v9
	v_mad_u64_u32 v[7:8], s[0:1], s18, v4, 0
	v_add3_u32 v8, v8, v11, v10
	v_sub_u32_e32 v10, v6, v8
	v_mov_b32_e32 v11, s19
	v_sub_co_u32_e32 v7, vcc, v5, v7
	v_subb_co_u32_e64 v10, s[0:1], v10, v11, vcc
	v_subrev_co_u32_e64 v11, s[0:1], s18, v7
	v_subbrev_co_u32_e64 v10, s[0:1], 0, v10, s[0:1]
	v_cmp_le_u32_e64 s[0:1], s19, v10
	v_cndmask_b32_e64 v12, 0, -1, s[0:1]
	v_cmp_le_u32_e64 s[0:1], s18, v11
	v_cndmask_b32_e64 v11, 0, -1, s[0:1]
	v_cmp_eq_u32_e64 s[0:1], s19, v10
	v_cndmask_b32_e64 v10, v12, v11, s[0:1]
	v_add_co_u32_e64 v11, s[0:1], 2, v4
	v_addc_co_u32_e64 v12, s[0:1], 0, v9, s[0:1]
	v_add_co_u32_e64 v13, s[0:1], 1, v4
	v_addc_co_u32_e64 v14, s[0:1], 0, v9, s[0:1]
	v_subb_co_u32_e32 v8, vcc, v6, v8, vcc
	v_cmp_ne_u32_e64 s[0:1], 0, v10
	v_cmp_le_u32_e32 vcc, s19, v8
	v_cndmask_b32_e64 v10, v14, v12, s[0:1]
	v_cndmask_b32_e64 v12, 0, -1, vcc
	v_cmp_le_u32_e32 vcc, s18, v7
	v_cndmask_b32_e64 v7, 0, -1, vcc
	v_cmp_eq_u32_e32 vcc, s19, v8
	v_cndmask_b32_e32 v7, v12, v7, vcc
	v_cmp_ne_u32_e32 vcc, 0, v7
	v_cndmask_b32_e64 v7, v13, v11, s[0:1]
	v_cndmask_b32_e32 v8, v9, v10, vcc
	v_cndmask_b32_e32 v7, v4, v7, vcc
.LBB0_4:                                ;   in Loop: Header=BB0_2 Depth=1
	s_andn2_saveexec_b64 s[0:1], s[20:21]
	s_cbranch_execz .LBB0_6
; %bb.5:                                ;   in Loop: Header=BB0_2 Depth=1
	v_cvt_f32_u32_e32 v4, s18
	s_sub_i32 s20, 0, s18
	v_rcp_iflag_f32_e32 v4, v4
	v_mul_f32_e32 v4, 0x4f7ffffe, v4
	v_cvt_u32_f32_e32 v4, v4
	v_mul_lo_u32 v7, s20, v4
	v_mul_hi_u32 v7, v4, v7
	v_add_u32_e32 v4, v4, v7
	v_mul_hi_u32 v4, v5, v4
	v_mul_lo_u32 v7, v4, s18
	v_add_u32_e32 v8, 1, v4
	v_sub_u32_e32 v7, v5, v7
	v_subrev_u32_e32 v9, s18, v7
	v_cmp_le_u32_e32 vcc, s18, v7
	v_cndmask_b32_e32 v7, v7, v9, vcc
	v_cndmask_b32_e32 v4, v4, v8, vcc
	v_add_u32_e32 v8, 1, v4
	v_cmp_le_u32_e32 vcc, s18, v7
	v_cndmask_b32_e32 v7, v4, v8, vcc
	v_mov_b32_e32 v8, v3
.LBB0_6:                                ;   in Loop: Header=BB0_2 Depth=1
	s_or_b64 exec, exec, s[0:1]
	v_mul_lo_u32 v4, v8, s18
	v_mul_lo_u32 v11, v7, s19
	v_mad_u64_u32 v[9:10], s[0:1], v7, s18, 0
	s_load_dwordx2 s[0:1], s[6:7], 0x0
	s_add_u32 s16, s16, 1
	v_add3_u32 v4, v10, v11, v4
	v_sub_co_u32_e32 v5, vcc, v5, v9
	v_subb_co_u32_e32 v4, vcc, v6, v4, vcc
	s_waitcnt lgkmcnt(0)
	v_mul_lo_u32 v4, s0, v4
	v_mul_lo_u32 v6, s1, v5
	v_mad_u64_u32 v[1:2], s[0:1], s0, v5, v[1:2]
	s_addc_u32 s17, s17, 0
	s_add_u32 s6, s6, 8
	v_add3_u32 v2, v6, v2, v4
	v_mov_b32_e32 v4, s10
	v_mov_b32_e32 v5, s11
	s_addc_u32 s7, s7, 0
	v_cmp_ge_u64_e32 vcc, s[16:17], v[4:5]
	s_add_u32 s14, s14, 8
	s_addc_u32 s15, s15, 0
	s_cbranch_vccnz .LBB0_9
; %bb.7:                                ;   in Loop: Header=BB0_2 Depth=1
	v_mov_b32_e32 v5, v7
	v_mov_b32_e32 v6, v8
	s_branch .LBB0_2
.LBB0_8:
	v_mov_b32_e32 v8, v6
	v_mov_b32_e32 v7, v5
.LBB0_9:
	s_lshl_b64 s[0:1], s[10:11], 3
	s_add_u32 s0, s2, s0
	s_addc_u32 s1, s3, s1
	s_load_dwordx2 s[2:3], s[0:1], 0x0
	s_load_dwordx2 s[6:7], s[4:5], 0x20
	s_waitcnt lgkmcnt(0)
	v_mad_u64_u32 v[1:2], s[0:1], s2, v7, v[1:2]
	v_mul_lo_u32 v3, s2, v8
	v_mul_lo_u32 v4, s3, v7
	s_mov_b32 s0, 0x1a41a42
	v_mul_hi_u32 v5, v0, s0
	v_cmp_gt_u64_e64 s[0:1], s[6:7], v[7:8]
	v_add3_u32 v2, v4, v2, v3
	v_lshlrev_b64 v[2:3], 2, v[1:2]
	v_mul_u32_u24_e32 v4, 0x9c, v5
	v_sub_u32_e32 v0, v0, v4
	s_and_saveexec_b64 s[2:3], s[0:1]
	s_cbranch_execz .LBB0_13
; %bb.10:
	v_mov_b32_e32 v1, 0
	v_mov_b32_e32 v4, s13
	v_add_co_u32_e32 v5, vcc, s12, v2
	v_lshlrev_b64 v[6:7], 2, v[0:1]
	v_addc_co_u32_e32 v4, vcc, v4, v3, vcc
	v_add_co_u32_e32 v6, vcc, v5, v6
	v_addc_co_u32_e32 v7, vcc, v4, v7, vcc
	v_add_co_u32_e32 v8, vcc, 0x1000, v6
	v_addc_co_u32_e32 v9, vcc, 0, v7, vcc
	global_load_dword v10, v[6:7], off
	global_load_dword v11, v[6:7], off offset:624
	global_load_dword v12, v[6:7], off offset:1248
	;; [unrolled: 1-line block ×9, first 2 shown]
	s_movk_i32 s4, 0x9b
	v_lshl_add_u32 v6, v0, 2, 0
	v_cmp_eq_u32_e32 vcc, s4, v0
	v_add_u32_e32 v7, 0x400, v6
	v_add_u32_e32 v8, 0x900, v6
	;; [unrolled: 1-line block ×4, first 2 shown]
	s_waitcnt vmcnt(8)
	ds_write2_b32 v6, v10, v11 offset1:156
	s_waitcnt vmcnt(6)
	ds_write2_b32 v7, v12, v13 offset0:56 offset1:212
	s_waitcnt vmcnt(4)
	ds_write2_b32 v8, v14, v15 offset0:48 offset1:204
	;; [unrolled: 2-line block ×4, first 2 shown]
	s_and_saveexec_b64 s[4:5], vcc
	s_cbranch_execz .LBB0_12
; %bb.11:
	v_add_co_u32_e32 v5, vcc, 0x1000, v5
	v_addc_co_u32_e32 v6, vcc, 0, v4, vcc
	global_load_dword v0, v[5:6], off offset:2144
	s_waitcnt vmcnt(0)
	ds_write_b32 v1, v0 offset:6240
	v_mov_b32_e32 v0, 0x9b
.LBB0_12:
	s_or_b64 exec, exec, s[4:5]
.LBB0_13:
	s_or_b64 exec, exec, s[2:3]
	v_lshlrev_b32_e32 v1, 2, v0
	v_add_u32_e32 v16, 0, v1
	s_waitcnt lgkmcnt(0)
	s_barrier
	v_sub_u32_e32 v6, 0, v1
	ds_read_u16 v9, v16
	ds_read_u16 v10, v6 offset:6240
	s_add_u32 s4, s8, 0x182c
	s_addc_u32 s5, s9, 0
	v_cmp_ne_u32_e32 vcc, 0, v0
                                        ; implicit-def: $vgpr4_vgpr5
	s_waitcnt lgkmcnt(0)
	v_add_f16_e32 v7, v10, v9
	v_sub_f16_e32 v8, v9, v10
	s_and_saveexec_b64 s[2:3], vcc
	s_xor_b64 s[2:3], exec, s[2:3]
	s_cbranch_execz .LBB0_15
; %bb.14:
	v_mov_b32_e32 v1, 0
	v_lshlrev_b64 v[4:5], 2, v[0:1]
	v_mov_b32_e32 v7, s5
	v_add_co_u32_e32 v4, vcc, s4, v4
	v_addc_co_u32_e32 v5, vcc, v7, v5, vcc
	global_load_dword v4, v[4:5], off
	ds_read_u16 v5, v6 offset:6242
	ds_read_u16 v7, v16 offset:2
	v_add_f16_e32 v8, v10, v9
	v_sub_f16_e32 v9, v9, v10
	s_waitcnt lgkmcnt(0)
	v_add_f16_e32 v10, v5, v7
	v_sub_f16_e32 v5, v7, v5
	s_waitcnt vmcnt(0)
	v_lshrrev_b32_e32 v7, 16, v4
	v_fma_f16 v11, v9, v7, v8
	v_fma_f16 v12, v10, v7, v5
	v_fma_f16 v13, -v9, v7, v8
	v_fma_f16 v5, v10, v7, -v5
	v_fma_f16 v7, -v4, v10, v11
	v_fma_f16 v8, v9, v4, v12
	v_fma_f16 v10, v4, v10, v13
	;; [unrolled: 1-line block ×3, first 2 shown]
	v_pack_b32_f16 v4, v10, v4
	ds_write_b32 v6, v4 offset:6240
	v_mov_b32_e32 v5, v1
	v_mov_b32_e32 v4, v0
.LBB0_15:
	s_andn2_saveexec_b64 s[2:3], s[2:3]
	s_cbranch_execz .LBB0_17
; %bb.16:
	v_mov_b32_e32 v1, 0
	ds_read_b32 v4, v1 offset:3120
	s_mov_b32 s6, 0xc0004000
	s_waitcnt lgkmcnt(0)
	v_pk_mul_f16 v9, v4, s6
	v_mov_b32_e32 v4, 0
	v_mov_b32_e32 v5, 0
	ds_write_b32 v1, v9 offset:3120
.LBB0_17:
	s_or_b64 exec, exec, s[2:3]
	v_lshlrev_b64 v[4:5], 2, v[4:5]
	v_mov_b32_e32 v1, s5
	v_add_co_u32_e32 v4, vcc, s4, v4
	v_addc_co_u32_e32 v5, vcc, v1, v5, vcc
	global_load_dword v1, v[4:5], off offset:624
	global_load_dword v9, v[4:5], off offset:1248
	;; [unrolled: 1-line block ×4, first 2 shown]
	s_mov_b32 s4, 0x5040100
	v_perm_b32 v4, v8, v7, s4
	ds_write_b32 v16, v4
	ds_read_b32 v4, v16 offset:624
	ds_read_b32 v5, v6 offset:5616
	v_add_u32_e32 v21, 0x1200, v16
	s_mov_b32 s10, 0xba95
	s_movk_i32 s5, 0x388b
	s_mov_b32 s6, 0xbb7b
	s_waitcnt lgkmcnt(0)
	v_add_f16_e32 v7, v4, v5
	v_add_f16_sdwa v8, v5, v4 dst_sel:DWORD dst_unused:UNUSED_PAD src0_sel:WORD_1 src1_sel:WORD_1
	v_sub_f16_e32 v12, v4, v5
	v_sub_f16_sdwa v4, v4, v5 dst_sel:DWORD dst_unused:UNUSED_PAD src0_sel:WORD_1 src1_sel:WORD_1
	s_mov_b32 s16, 0xbbf1
	s_mov_b32 s7, 0xb5ac
	s_movk_i32 s11, 0x2fb7
	s_mov_b32 s14, 0xb3a8
	s_mov_b32 s15, 0xbbc4
	s_movk_i32 s2, 0x3b7b
	v_add_u32_e32 v22, 0xe00, v16
	s_movk_i32 s22, 0x394e
	s_mov_b32 s17, 0xb9fd
	s_movk_i32 s18, 0x3770
	s_movk_i32 s20, 0x3b15
	s_movk_i32 s19, 0x3bf1
	v_add_u32_e32 v20, 0xa00, v16
	s_mov_b32 s21, 0xb94e
	s_waitcnt vmcnt(3)
	v_lshrrev_b32_e32 v5, 16, v1
	v_fma_f16 v13, v12, v5, v7
	v_fma_f16 v14, v8, v5, v4
	v_fma_f16 v7, -v12, v5, v7
	v_fma_f16 v4, v8, v5, -v4
	v_fma_f16 v5, -v1, v8, v13
	v_fma_f16 v13, v12, v1, v14
	v_fma_f16 v7, v1, v8, v7
	;; [unrolled: 1-line block ×3, first 2 shown]
	v_pack_b32_f16 v4, v5, v13
	v_pack_b32_f16 v1, v7, v1
	ds_write_b32 v16, v4 offset:624
	ds_write_b32 v6, v1 offset:5616
	ds_read_b32 v1, v16 offset:1248
	ds_read_b32 v4, v6 offset:4992
	s_waitcnt vmcnt(2)
	v_lshrrev_b32_e32 v5, 16, v9
	s_waitcnt lgkmcnt(0)
	v_add_f16_e32 v7, v1, v4
	v_add_f16_sdwa v8, v4, v1 dst_sel:DWORD dst_unused:UNUSED_PAD src0_sel:WORD_1 src1_sel:WORD_1
	v_sub_f16_e32 v12, v1, v4
	v_sub_f16_sdwa v1, v1, v4 dst_sel:DWORD dst_unused:UNUSED_PAD src0_sel:WORD_1 src1_sel:WORD_1
	v_fma_f16 v4, v12, v5, v7
	v_fma_f16 v13, v8, v5, v1
	v_fma_f16 v7, -v12, v5, v7
	v_fma_f16 v1, v8, v5, -v1
	v_fma_f16 v4, -v9, v8, v4
	v_fma_f16 v5, v12, v9, v13
	v_fma_f16 v7, v9, v8, v7
	;; [unrolled: 1-line block ×3, first 2 shown]
	v_pack_b32_f16 v4, v4, v5
	v_pack_b32_f16 v1, v7, v1
	ds_write_b32 v16, v4 offset:1248
	ds_write_b32 v6, v1 offset:4992
	ds_read_b32 v1, v16 offset:1872
	ds_read_b32 v4, v6 offset:4368
	s_waitcnt vmcnt(1)
	v_lshrrev_b32_e32 v5, 16, v10
	v_add_u32_e32 v7, 0x200, v16
	s_waitcnt lgkmcnt(0)
	v_add_f16_e32 v8, v1, v4
	v_add_f16_sdwa v9, v4, v1 dst_sel:DWORD dst_unused:UNUSED_PAD src0_sel:WORD_1 src1_sel:WORD_1
	v_sub_f16_e32 v12, v1, v4
	v_sub_f16_sdwa v1, v1, v4 dst_sel:DWORD dst_unused:UNUSED_PAD src0_sel:WORD_1 src1_sel:WORD_1
	v_fma_f16 v4, v12, v5, v8
	v_fma_f16 v13, v9, v5, v1
	v_fma_f16 v8, -v12, v5, v8
	v_fma_f16 v1, v9, v5, -v1
	v_fma_f16 v4, -v10, v9, v4
	v_fma_f16 v5, v12, v10, v13
	v_fma_f16 v8, v10, v9, v8
	;; [unrolled: 1-line block ×3, first 2 shown]
	v_pack_b32_f16 v4, v4, v5
	v_pack_b32_f16 v1, v8, v1
	ds_write_b32 v16, v4 offset:1872
	ds_write_b32 v6, v1 offset:4368
	ds_read_b32 v1, v16 offset:2496
	ds_read_b32 v4, v6 offset:3744
	s_waitcnt vmcnt(0)
	v_lshrrev_b32_e32 v5, 16, v11
	s_waitcnt lgkmcnt(0)
	v_add_f16_e32 v8, v1, v4
	v_add_f16_sdwa v9, v4, v1 dst_sel:DWORD dst_unused:UNUSED_PAD src0_sel:WORD_1 src1_sel:WORD_1
	v_sub_f16_e32 v10, v1, v4
	v_sub_f16_sdwa v1, v1, v4 dst_sel:DWORD dst_unused:UNUSED_PAD src0_sel:WORD_1 src1_sel:WORD_1
	v_fma_f16 v4, v10, v5, v8
	v_fma_f16 v12, v9, v5, v1
	v_fma_f16 v8, -v10, v5, v8
	v_fma_f16 v1, v9, v5, -v1
	v_fma_f16 v4, -v11, v9, v4
	v_fma_f16 v5, v10, v11, v12
	v_fma_f16 v8, v11, v9, v8
	;; [unrolled: 1-line block ×3, first 2 shown]
	v_pack_b32_f16 v4, v4, v5
	v_pack_b32_f16 v1, v8, v1
	ds_write_b32 v16, v4 offset:2496
	ds_write_b32 v6, v1 offset:3744
	s_waitcnt lgkmcnt(0)
	s_barrier
	s_barrier
	ds_read_b32 v27, v16 offset:5760
	ds_read2_b32 v[4:5], v16 offset1:120
	ds_read2_b32 v[8:9], v7 offset0:112 offset1:232
	ds_read2_b32 v[6:7], v21 offset0:48 offset1:168
	s_waitcnt lgkmcnt(2)
	v_pk_add_f16 v26, v27, v5
	v_pk_add_f16 v23, v5, v27 neg_lo:[0,1] neg_hi:[0,1]
	s_waitcnt lgkmcnt(0)
	v_pk_add_f16 v24, v8, v7 neg_lo:[0,1] neg_hi:[0,1]
	v_mul_f16_sdwa v33, v23, s10 dst_sel:DWORD dst_unused:UNUSED_PAD src0_sel:WORD_1 src1_sel:DWORD
	v_lshrrev_b32_e32 v56, 16, v26
	v_pk_add_f16 v25, v7, v8
	v_mul_f16_sdwa v34, v24, s6 dst_sel:DWORD dst_unused:UNUSED_PAD src0_sel:WORD_1 src1_sel:DWORD
	v_mul_f16_sdwa v41, v23, s16 dst_sel:DWORD dst_unused:UNUSED_PAD src0_sel:WORD_1 src1_sel:DWORD
	v_fma_f16 v1, v26, s5, -v33
	v_mul_f16_e32 v38, 0x388b, v56
	v_lshrrev_b32_e32 v55, 16, v25
	v_fma_f16 v10, v25, s7, -v34
	v_fma_f16 v11, v26, s11, -v41
	v_add_f16_e32 v1, v4, v1
	v_fma_f16 v12, v23, s10, v38
	v_mul_f16_sdwa v42, v24, s14 dst_sel:DWORD dst_unused:UNUSED_PAD src0_sel:WORD_1 src1_sel:DWORD
	v_mul_f16_e32 v37, 0xb5ac, v55
	v_add_f16_e32 v11, v4, v11
	v_add_f16_e32 v1, v10, v1
	v_add_f16_sdwa v10, v4, v12 dst_sel:DWORD dst_unused:UNUSED_PAD src0_sel:WORD_1 src1_sel:DWORD
	v_fma_f16 v12, v25, s15, -v42
	v_mul_f16_e32 v49, 0x2fb7, v56
	v_fma_f16 v13, v24, s6, v37
	v_add_f16_e32 v11, v12, v11
	v_fma_f16 v12, v23, s16, v49
	v_mul_f16_e32 v48, 0xbbc4, v55
	v_pk_add_f16 v29, v6, v9
	v_pk_add_f16 v28, v9, v6 neg_lo:[0,1] neg_hi:[0,1]
	v_add_f16_e32 v10, v13, v10
	v_add_f16_sdwa v12, v4, v12 dst_sel:DWORD dst_unused:UNUSED_PAD src0_sel:WORD_1 src1_sel:DWORD
	v_fma_f16 v13, v24, s14, v48
	v_mul_f16_sdwa v39, v28, s14 dst_sel:DWORD dst_unused:UNUSED_PAD src0_sel:WORD_1 src1_sel:DWORD
	v_lshrrev_b32_e32 v60, 16, v29
	v_add_f16_e32 v14, v13, v12
	v_fma_f16 v12, v29, s15, -v39
	v_mul_f16_e32 v43, 0xbbc4, v60
	v_add_f16_e32 v1, v12, v1
	v_fma_f16 v12, v28, s14, v43
	v_mul_f16_sdwa v45, v28, s2 dst_sel:DWORD dst_unused:UNUSED_PAD src0_sel:WORD_1 src1_sel:DWORD
	v_add_f16_e32 v15, v12, v10
	v_fma_f16 v10, v29, s7, -v45
	v_add_f16_e32 v17, v10, v11
	v_add_u32_e32 v10, 0x600, v16
	ds_read2_b32 v[12:13], v10 offset0:96 offset1:216
	ds_read2_b32 v[10:11], v22 offset0:64 offset1:184
	v_mul_f16_e32 v51, 0xb5ac, v60
	v_fma_f16 v18, v28, s2, v51
	v_add_f16_e32 v14, v18, v14
	s_movk_i32 s2, 0x78
	s_waitcnt lgkmcnt(0)
	v_pk_add_f16 v31, v11, v12
	v_pk_add_f16 v30, v12, v11 neg_lo:[0,1] neg_hi:[0,1]
	v_mul_f16_sdwa v44, v30, s22 dst_sel:DWORD dst_unused:UNUSED_PAD src0_sel:WORD_1 src1_sel:DWORD
	v_lshrrev_b32_e32 v63, 16, v31
	v_fma_f16 v18, v31, s17, -v44
	v_mul_f16_e32 v46, 0xb9fd, v63
	v_add_f16_e32 v1, v18, v1
	v_fma_f16 v18, v30, s22, v46
	v_mul_f16_sdwa v50, v30, s18 dst_sel:DWORD dst_unused:UNUSED_PAD src0_sel:WORD_1 src1_sel:DWORD
	v_add_f16_e32 v15, v18, v15
	v_fma_f16 v18, v31, s20, -v50
	v_mul_f16_e32 v58, 0x3b15, v63
	v_pk_add_f16 v35, v10, v13
	v_pk_add_f16 v32, v13, v10 neg_lo:[0,1] neg_hi:[0,1]
	v_add_f16_e32 v17, v18, v17
	v_fma_f16 v18, v30, s18, v58
	v_mul_f16_sdwa v47, v32, s19 dst_sel:DWORD dst_unused:UNUSED_PAD src0_sel:WORD_1 src1_sel:DWORD
	v_lshrrev_b32_e32 v64, 16, v35
	v_add_f16_e32 v18, v18, v14
	v_fma_f16 v14, v35, s11, -v47
	v_mul_f16_e32 v52, 0x2fb7, v64
	v_add_f16_e32 v1, v14, v1
	v_fma_f16 v14, v32, s19, v52
	v_add_f16_e32 v19, v14, v15
	ds_read2_b32 v[14:15], v20 offset0:80 offset1:200
	v_mul_f16_sdwa v54, v32, s10 dst_sel:DWORD dst_unused:UNUSED_PAD src0_sel:WORD_1 src1_sel:DWORD
	v_fma_f16 v36, v35, s5, -v54
	v_add_f16_e32 v62, v36, v17
	v_mul_f16_e32 v61, 0x388b, v64
	s_waitcnt lgkmcnt(0)
	v_pk_add_f16 v40, v15, v14
	v_pk_add_f16 v36, v14, v15 neg_lo:[0,1] neg_hi:[0,1]
	v_fma_f16 v17, v32, s10, v61
	v_mul_f16_sdwa v53, v36, s18 dst_sel:DWORD dst_unused:UNUSED_PAD src0_sel:WORD_1 src1_sel:DWORD
	v_lshrrev_b32_e32 v65, 16, v40
	v_mul_f16_sdwa v59, v36, s21 dst_sel:DWORD dst_unused:UNUSED_PAD src0_sel:WORD_1 src1_sel:DWORD
	v_add_f16_e32 v66, v17, v18
	v_fma_f16 v17, v40, s20, -v53
	v_mul_f16_e32 v57, 0x3b15, v65
	v_fma_f16 v18, v40, s17, -v59
	v_add_f16_e32 v1, v17, v1
	v_fma_f16 v17, v36, s18, v57
	v_add_f16_e32 v18, v18, v62
	v_mul_f16_e32 v62, 0xb9fd, v65
	v_add_f16_e32 v17, v17, v19
	v_fma_f16 v19, v36, s21, v62
	v_add_f16_e32 v19, v19, v66
	v_cmp_gt_u32_e32 vcc, s2, v0
	s_barrier
	s_and_saveexec_b64 s[2:3], vcc
	s_cbranch_execz .LBB0_19
; %bb.18:
	v_mul_f16_e32 v66, 0xbb7b, v23
	v_fma_f16 v67, v56, s7, v66
	v_mul_f16_e32 v68, 0x394e, v24
	v_add_f16_sdwa v67, v4, v67 dst_sel:DWORD dst_unused:UNUSED_PAD src0_sel:WORD_1 src1_sel:DWORD
	v_fma_f16 v69, v55, s17, v68
	v_add_f16_e32 v67, v69, v67
	v_mul_f16_e32 v69, 0x3770, v28
	v_fma_f16 v70, v60, s20, v69
	v_add_f16_e32 v67, v70, v67
	v_mul_f16_e32 v70, 0xbbf1, v30
	;; [unrolled: 3-line block ×4, first 2 shown]
	v_fma_f16 v73, v65, s5, v72
	v_add_f16_e32 v67, v73, v67
	v_mul_f16_sdwa v73, v23, s6 dst_sel:DWORD dst_unused:UNUSED_PAD src0_sel:WORD_1 src1_sel:DWORD
	v_fma_f16 v74, v26, s7, -v73
	v_mul_f16_sdwa v75, v24, s22 dst_sel:DWORD dst_unused:UNUSED_PAD src0_sel:WORD_1 src1_sel:DWORD
	v_add_f16_e32 v74, v4, v74
	v_fma_f16 v76, v25, s17, -v75
	v_add_f16_e32 v74, v76, v74
	v_mul_f16_sdwa v76, v28, s18 dst_sel:DWORD dst_unused:UNUSED_PAD src0_sel:WORD_1 src1_sel:DWORD
	v_fma_f16 v77, v29, s20, -v76
	v_add_f16_e32 v74, v77, v74
	v_mul_f16_sdwa v77, v30, s16 dst_sel:DWORD dst_unused:UNUSED_PAD src0_sel:WORD_1 src1_sel:DWORD
	v_fma_f16 v78, v31, s11, -v77
	s_movk_i32 s23, 0x33a8
	v_add_f16_e32 v74, v78, v74
	v_mul_f16_sdwa v78, v32, s23 dst_sel:DWORD dst_unused:UNUSED_PAD src0_sel:WORD_1 src1_sel:DWORD
	v_fma_f16 v79, v35, s15, -v78
	s_movk_i32 s22, 0x3a95
	v_add_f16_e32 v74, v79, v74
	v_mul_f16_sdwa v79, v36, s22 dst_sel:DWORD dst_unused:UNUSED_PAD src0_sel:WORD_1 src1_sel:DWORD
	v_fma_f16 v80, v40, s5, -v79
	v_add_f16_e32 v74, v80, v74
	v_mul_f16_e32 v80, 0xb94e, v23
	v_fma_f16 v81, v56, s17, v80
	v_mul_f16_e32 v82, 0x3bf1, v24
	v_add_f16_sdwa v81, v4, v81 dst_sel:DWORD dst_unused:UNUSED_PAD src0_sel:WORD_1 src1_sel:DWORD
	v_fma_f16 v83, v55, s11, v82
	v_add_f16_e32 v81, v83, v81
	v_mul_f16_e32 v83, 0xba95, v28
	v_fma_f16 v84, v60, s5, v83
	v_add_f16_e32 v81, v84, v81
	v_mul_f16_e32 v84, 0x33a8, v30
	v_fma_f16 v80, v56, s17, -v80
	v_fma_f16 v85, v63, s15, v84
	v_add_f16_sdwa v80, v4, v80 dst_sel:DWORD dst_unused:UNUSED_PAD src0_sel:WORD_1 src1_sel:DWORD
	v_fma_f16 v82, v55, s11, -v82
	v_add_f16_e32 v81, v85, v81
	v_mul_f16_e32 v85, 0x3770, v32
	v_add_f16_e32 v80, v82, v80
	v_fma_f16 v82, v60, s5, -v83
	v_fma_f16 v56, v56, s7, -v66
	v_fma_f16 v86, v64, s20, v85
	v_add_f16_e32 v80, v82, v80
	v_fma_f16 v82, v63, s15, -v84
	v_fma_f16 v55, v55, s17, -v68
	v_add_f16_sdwa v56, v4, v56 dst_sel:DWORD dst_unused:UNUSED_PAD src0_sel:WORD_1 src1_sel:DWORD
	v_add_f16_e32 v81, v86, v81
	v_mul_f16_e32 v86, 0xbb7b, v36
	v_add_f16_e32 v80, v82, v80
	v_fma_f16 v82, v64, s20, -v85
	v_add_f16_e32 v55, v55, v56
	v_fma_f16 v56, v60, s20, -v69
	v_fma_f16 v87, v65, s7, v86
	v_add_f16_e32 v80, v82, v80
	v_fma_f16 v82, v65, s7, -v86
	v_add_f16_e32 v55, v56, v55
	v_fma_f16 v56, v63, s11, -v70
	v_fma_f16 v63, v65, s5, -v72
	v_fma_f16 v65, v26, s7, v73
	v_add_f16_e32 v65, v4, v65
	v_fma_f16 v66, v25, s17, v75
	v_add_f16_e32 v55, v56, v55
	v_fma_f16 v56, v64, s15, -v71
	v_add_f16_e32 v65, v66, v65
	v_fma_f16 v68, v29, s20, v76
	v_add_f16_e32 v55, v56, v55
	v_add_f16_e32 v65, v68, v65
	v_fma_f16 v69, v31, s11, v77
	v_add_f16_e32 v55, v63, v55
	v_mul_f16_e32 v63, 0xbbf1, v23
	v_add_f16_e32 v65, v69, v65
	v_fma_f16 v70, v35, s15, v78
	v_add_f16_e32 v65, v70, v65
	v_mul_f16_e32 v70, 0xb3a8, v24
	v_sub_f16_e32 v49, v49, v63
	v_sub_f16_e32 v48, v48, v70
	v_add_f16_sdwa v49, v4, v49 dst_sel:DWORD dst_unused:UNUSED_PAD src0_sel:WORD_1 src1_sel:DWORD
	v_add_f16_e32 v48, v48, v49
	v_mul_f16_e32 v49, 0x3b7b, v28
	v_sub_f16_e32 v49, v51, v49
	v_pk_add_f16 v5, v4, v5
	v_add_f16_e32 v48, v49, v48
	v_mul_f16_e32 v49, 0x3770, v30
	v_pk_add_f16 v5, v5, v8
	v_mul_f16_e32 v60, 0x388b, v26
	v_sub_f16_e32 v49, v58, v49
	v_pk_add_f16 v5, v5, v9
	v_add_f16_e32 v81, v87, v81
	v_mul_f16_sdwa v87, v23, s21 dst_sel:DWORD dst_unused:UNUSED_PAD src0_sel:WORD_1 src1_sel:DWORD
	v_mul_f16_e32 v56, 0xba95, v23
	v_mul_f16_e32 v66, 0xb5ac, v25
	v_fma_f16 v71, v40, s5, v79
	v_add_f16_e32 v48, v49, v48
	v_mul_f16_e32 v49, 0xba95, v32
	v_add_f16_e32 v33, v60, v33
	v_pk_add_f16 v5, v5, v12
	v_fma_f16 v88, v26, s17, -v87
	v_mul_f16_sdwa v89, v24, s19 dst_sel:DWORD dst_unused:UNUSED_PAD src0_sel:WORD_1 src1_sel:DWORD
	v_mul_f16_e32 v68, 0xbb7b, v24
	v_add_f16_e32 v65, v71, v65
	v_mul_f16_e32 v71, 0xbbc4, v29
	v_sub_f16_e32 v49, v61, v49
	v_sub_f16_e32 v38, v38, v56
	v_add_f16_e32 v33, v4, v33
	v_add_f16_e32 v34, v66, v34
	v_pk_add_f16 v5, v5, v13
	v_add_f16_e32 v88, v4, v88
	v_fma_f16 v90, v25, s11, -v89
	v_mul_f16_e32 v64, 0x2fb7, v26
	v_mul_f16_e32 v63, 0xb3a8, v28
	;; [unrolled: 1-line block ×3, first 2 shown]
	v_add_f16_e32 v48, v49, v48
	v_mul_f16_e32 v49, 0xb94e, v36
	v_add_f16_sdwa v38, v4, v38 dst_sel:DWORD dst_unused:UNUSED_PAD src0_sel:WORD_1 src1_sel:DWORD
	v_sub_f16_e32 v37, v37, v68
	v_add_f16_e32 v33, v34, v33
	v_add_f16_e32 v34, v71, v39
	v_pk_add_f16 v5, v5, v14
	v_add_f16_e32 v88, v90, v88
	v_mul_f16_sdwa v90, v28, s10 dst_sel:DWORD dst_unused:UNUSED_PAD src0_sel:WORD_1 src1_sel:DWORD
	v_mul_f16_e32 v69, 0xbbc4, v25
	v_mul_f16_e32 v58, 0x394e, v30
	v_sub_f16_e32 v49, v62, v49
	v_mul_f16_e32 v62, 0x2fb7, v35
	v_add_f16_e32 v41, v64, v41
	v_add_f16_e32 v37, v37, v38
	v_sub_f16_e32 v38, v43, v63
	v_add_f16_e32 v33, v34, v33
	v_add_f16_e32 v34, v51, v44
	v_pk_add_f16 v5, v5, v15
	v_fma_f16 v91, v29, s5, -v90
	v_add_f16_e32 v48, v49, v48
	v_mul_f16_e32 v49, 0x3bf1, v32
	v_add_f16_e32 v42, v69, v42
	v_mul_f16_e32 v69, 0x3b15, v40
	v_add_f16_e32 v41, v4, v41
	v_add_f16_e32 v37, v38, v37
	v_sub_f16_e32 v38, v46, v58
	v_add_f16_e32 v33, v34, v33
	v_add_f16_e32 v34, v62, v47
	v_pk_add_f16 v5, v5, v10
	v_add_f16_e32 v88, v91, v88
	v_mul_f16_sdwa v91, v30, s23 dst_sel:DWORD dst_unused:UNUSED_PAD src0_sel:WORD_1 src1_sel:DWORD
	v_add_f16_e32 v41, v42, v41
	v_mul_f16_e32 v42, 0x3770, v36
	v_add_f16_e32 v37, v38, v37
	v_sub_f16_e32 v38, v52, v49
	v_add_f16_e32 v33, v34, v33
	v_add_f16_e32 v34, v69, v53
	s_mov_b32 s23, 0xb770
	v_pk_add_f16 v5, v5, v11
	v_add_f16_e32 v37, v38, v37
	v_sub_f16_e32 v38, v57, v42
	v_add_f16_e32 v33, v34, v33
	v_pk_mul_f16 v34, v23, s23 op_sel_hi:[1,0]
	v_pk_add_f16 v5, v5, v6
	v_add_f16_e32 v37, v38, v37
	v_pk_mul_f16 v38, v24, s10 op_sel_hi:[1,0]
	v_pk_add_f16 v5, v5, v7
	v_pk_fma_f16 v6, v26, s20, v34 op_sel:[0,0,1] op_sel_hi:[1,0,0]
	v_pk_fma_f16 v7, v26, s20, v34 op_sel:[0,0,1] op_sel_hi:[1,0,0] neg_lo:[0,0,1] neg_hi:[0,0,1]
	s_mov_b32 s10, 0xffff
	v_bfi_b32 v8, s10, v6, v7
	v_pk_fma_f16 v9, v25, s5, v38 op_sel:[0,0,1] op_sel_hi:[1,0,0]
	v_pk_fma_f16 v10, v25, s5, v38 op_sel:[0,0,1] op_sel_hi:[1,0,0] neg_lo:[0,0,1] neg_hi:[0,0,1]
	v_pk_mul_f16 v39, v28, s16 op_sel_hi:[1,0]
	v_pk_add_f16 v8, v4, v8
	v_bfi_b32 v11, s10, v9, v10
	v_pk_add_f16 v8, v11, v8
	v_pk_fma_f16 v11, v29, s11, v39 op_sel:[0,0,1] op_sel_hi:[1,0,0]
	v_pk_fma_f16 v12, v29, s11, v39 op_sel:[0,0,1] op_sel_hi:[1,0,0] neg_lo:[0,0,1] neg_hi:[0,0,1]
	v_pk_mul_f16 v42, v30, s6 op_sel_hi:[1,0]
	v_bfi_b32 v13, s10, v11, v12
	v_pk_add_f16 v8, v13, v8
	v_pk_fma_f16 v13, v31, s7, v42 op_sel:[0,0,1] op_sel_hi:[1,0,0]
	v_pk_fma_f16 v14, v31, s7, v42 op_sel:[0,0,1] op_sel_hi:[1,0,0] neg_lo:[0,0,1] neg_hi:[0,0,1]
	v_add_f16_e32 v80, v82, v80
	v_fma_f16 v82, v26, s17, v87
	v_mul_f16_e32 v70, 0xb5ac, v29
	v_pk_mul_f16 v43, v32, s21 op_sel_hi:[1,0]
	v_bfi_b32 v15, s10, v13, v14
	v_fma_f16 v92, v31, s15, -v91
	v_add_f16_e32 v82, v4, v82
	v_fma_f16 v83, v25, s11, v89
	v_mul_f16_e32 v61, 0x3b15, v31
	v_add_f16_e32 v45, v70, v45
	v_pk_add_f16 v5, v5, v27
	v_pk_add_f16 v8, v15, v8
	v_pk_fma_f16 v15, v35, s17, v43 op_sel:[0,0,1] op_sel_hi:[1,0,0]
	v_pk_fma_f16 v27, v35, s17, v43 op_sel:[0,0,1] op_sel_hi:[1,0,0] neg_lo:[0,0,1] neg_hi:[0,0,1]
	v_add_f16_e32 v88, v92, v88
	v_mul_f16_sdwa v92, v32, s18 dst_sel:DWORD dst_unused:UNUSED_PAD src0_sel:WORD_1 src1_sel:DWORD
	v_add_f16_e32 v82, v83, v82
	v_fma_f16 v83, v29, s5, v90
	v_mul_f16_e32 v64, 0x388b, v35
	v_add_f16_e32 v41, v45, v41
	v_add_f16_e32 v45, v61, v50
	v_pk_mul_f16 v44, v36, s14 op_sel_hi:[1,0]
	v_bfi_b32 v34, s10, v15, v27
	v_fma_f16 v93, v35, s20, -v92
	v_add_f16_e32 v82, v83, v82
	v_fma_f16 v83, v31, s15, v91
	v_mul_f16_e32 v70, 0xb9fd, v40
	v_add_f16_e32 v41, v45, v41
	v_add_f16_e32 v45, v64, v54
	v_pk_add_f16 v8, v34, v8
	v_pk_fma_f16 v34, v40, s15, v44 op_sel:[0,0,1] op_sel_hi:[1,0,0]
	v_pk_fma_f16 v38, v40, s15, v44 op_sel:[0,0,1] op_sel_hi:[1,0,0] neg_lo:[0,0,1] neg_hi:[0,0,1]
	v_add_f16_e32 v88, v93, v88
	v_mul_f16_sdwa v93, v36, s6 dst_sel:DWORD dst_unused:UNUSED_PAD src0_sel:WORD_1 src1_sel:DWORD
	v_add_f16_e32 v82, v83, v82
	v_fma_f16 v83, v35, s20, v92
	v_add_f16_e32 v41, v45, v41
	v_add_f16_e32 v45, v70, v59
	v_bfi_b32 v39, s10, v34, v38
	v_add_f16_e32 v82, v83, v82
	v_fma_f16 v83, v40, s7, v93
	v_add_f16_e32 v41, v45, v41
	v_mad_u32_u24 v45, v0, 48, v16
	v_pk_add_f16 v8, v39, v8
	v_add_f16_e32 v82, v83, v82
	ds_write2_b32 v45, v5, v8 offset1:1
	v_pack_b32_f16 v5, v41, v48
	v_pack_b32_f16 v8, v33, v37
	ds_write2_b32 v45, v8, v5 offset0:2 offset1:3
	v_pack_b32_f16 v5, v82, v80
	v_pack_b32_f16 v8, v65, v55
	ds_write2_b32 v45, v8, v5 offset0:4 offset1:5
	v_pk_mul_f16 v5, v26, s15 op_sel_hi:[1,0]
	v_pk_fma_f16 v8, v23, s14, v5 op_sel:[0,0,1] op_sel_hi:[1,0,0]
	v_pk_mul_f16 v25, v25, s20 op_sel_hi:[1,0]
	v_pk_fma_f16 v5, v23, s14, v5 op_sel:[0,0,1] op_sel_hi:[1,0,0] neg_lo:[1,0,0] neg_hi:[1,0,0]
	v_pk_mul_f16 v29, v29, s17 op_sel_hi:[1,0]
	v_pk_add_f16 v5, v4, v5 op_sel:[1,0] op_sel_hi:[0,1]
	v_pk_fma_f16 v23, v24, s18, v25 op_sel:[0,0,1] op_sel_hi:[1,0,0] neg_lo:[1,0,0] neg_hi:[1,0,0]
	v_pk_mul_f16 v31, v31, s5 op_sel_hi:[1,0]
	v_pk_add_f16 v5, v23, v5
	v_pk_fma_f16 v23, v28, s21, v29 op_sel:[0,0,1] op_sel_hi:[1,0,0] neg_lo:[1,0,0] neg_hi:[1,0,0]
	v_pk_mul_f16 v35, v35, s7 op_sel_hi:[1,0]
	v_pk_add_f16 v5, v23, v5
	v_pk_fma_f16 v23, v30, s22, v31 op_sel:[0,0,1] op_sel_hi:[1,0,0] neg_lo:[1,0,0] neg_hi:[1,0,0]
	v_fma_f16 v94, v40, s7, -v93
	v_alignbit_b32 v26, s0, v4, 16
	v_pk_mul_f16 v40, v40, s11 op_sel_hi:[1,0]
	v_pk_add_f16 v5, v23, v5
	v_pk_fma_f16 v23, v32, s6, v35 op_sel:[0,0,1] op_sel_hi:[1,0,0] neg_lo:[1,0,0] neg_hi:[1,0,0]
	v_pk_add_f16 v26, v26, v8
	v_pk_fma_f16 v33, v24, s18, v25 op_sel:[0,0,1] op_sel_hi:[1,0,0]
	v_pk_add_f16 v5, v23, v5
	v_pk_fma_f16 v23, v36, s19, v40 op_sel:[0,0,1] op_sel_hi:[1,0,0] neg_lo:[1,0,0] neg_hi:[1,0,0]
	v_alignbit_b32 v8, s0, v8, 16
	v_pk_fma_f16 v37, v28, s21, v29 op_sel:[0,0,1] op_sel_hi:[1,0,0]
	v_pk_add_f16 v5, v23, v5
	v_pk_add_f16 v8, v4, v8
	v_alignbit_b32 v23, s0, v33, 16
	v_pk_add_f16 v26, v33, v26
	v_pk_fma_f16 v39, v30, s22, v31 op_sel:[0,0,1] op_sel_hi:[1,0,0]
	v_pk_add_f16 v8, v23, v8
	v_alignbit_b32 v23, s0, v37, 16
	v_pk_add_f16 v26, v37, v26
	v_pk_fma_f16 v41, v32, s6, v35 op_sel:[0,0,1] op_sel_hi:[1,0,0]
	;; [unrolled: 4-line block ×3, first 2 shown]
	v_pk_add_f16 v8, v23, v8
	v_alignbit_b32 v23, s0, v41, 16
	v_pk_add_f16 v26, v41, v26
	v_pk_add_f16 v8, v23, v8
	v_alignbit_b32 v23, s0, v42, 16
	v_pk_add_f16 v26, v42, v26
	v_pk_add_f16 v8, v23, v8
	v_add_f16_e32 v88, v94, v88
	v_alignbit_b32 v23, v26, v5, 16
	v_pack_b32_f16 v5, v8, v5
	ds_write2_b32 v45, v5, v23 offset0:6 offset1:7
	v_pack_b32_f16 v5, v74, v67
	v_pack_b32_f16 v8, v88, v81
	ds_write2_b32 v45, v8, v5 offset0:8 offset1:9
	v_perm_b32 v5, v17, v1, s4
	v_perm_b32 v8, v19, v18, s4
	ds_write2_b32 v45, v8, v5 offset0:10 offset1:11
	v_bfi_b32 v5, s10, v7, v6
	v_pk_add_f16 v4, v4, v5
	v_bfi_b32 v5, s10, v10, v9
	v_pk_add_f16 v4, v5, v4
	;; [unrolled: 2-line block ×6, first 2 shown]
	ds_write_b32 v45, v4 offset:48
.LBB0_19:
	s_or_b64 exec, exec, s[2:3]
	s_movk_i32 s2, 0x4f
	v_add_u32_e32 v23, 0x9c, v0
	v_mul_lo_u16_sdwa v26, v0, s2 dst_sel:DWORD dst_unused:UNUSED_PAD src0_sel:BYTE_0 src1_sel:DWORD
	s_movk_i32 s2, 0x4ec5
	v_add_u32_e32 v15, 0x138, v0
	v_lshrrev_b16_e32 v27, 10, v26
	v_mul_u32_u24_sdwa v28, v23, s2 dst_sel:DWORD dst_unused:UNUSED_PAD src0_sel:WORD_0 src1_sel:DWORD
	v_add_u32_e32 v14, 0x1d4, v0
	v_mul_lo_u16_e32 v4, 13, v27
	v_lshrrev_b32_e32 v29, 18, v28
	v_mul_u32_u24_sdwa v30, v15, s2 dst_sel:DWORD dst_unused:UNUSED_PAD src0_sel:WORD_0 src1_sel:DWORD
	v_add_u32_e32 v13, 0x270, v0
	v_sub_u16_e32 v5, v0, v4
	v_mul_lo_u16_e32 v4, 13, v29
	v_lshrrev_b32_e32 v31, 18, v30
	v_mul_u32_u24_sdwa v32, v14, s2 dst_sel:DWORD dst_unused:UNUSED_PAD src0_sel:WORD_0 src1_sel:DWORD
	v_sub_u16_e32 v6, v23, v4
	v_mul_lo_u16_e32 v4, 13, v31
	v_lshrrev_b32_e32 v33, 18, v32
	v_mul_u32_u24_sdwa v34, v13, s2 dst_sel:DWORD dst_unused:UNUSED_PAD src0_sel:WORD_0 src1_sel:DWORD
	v_sub_u16_e32 v7, v15, v4
	v_mul_lo_u16_e32 v4, 13, v33
	v_lshrrev_b32_e32 v35, 18, v34
	v_sub_u16_e32 v8, v14, v4
	v_mul_lo_u16_e32 v4, 13, v35
	v_sub_u16_e32 v9, v13, v4
	v_mov_b32_e32 v4, 2
	v_lshlrev_b32_e32 v40, 2, v9
	s_waitcnt lgkmcnt(0)
	s_barrier
	v_lshlrev_b32_sdwa v36, v4, v5 dst_sel:DWORD dst_unused:UNUSED_PAD src0_sel:DWORD src1_sel:BYTE_0
	v_lshlrev_b32_e32 v37, 2, v6
	v_lshlrev_b32_e32 v38, 2, v7
	;; [unrolled: 1-line block ×3, first 2 shown]
	global_load_dword v41, v40, s[8:9]
	global_load_dword v42, v39, s[8:9]
	;; [unrolled: 1-line block ×5, first 2 shown]
	v_add_u32_e32 v46, 0x900, v16
	ds_read2_b32 v[7:8], v22 offset0:40 offset1:196
	ds_read2_b32 v[9:10], v21 offset0:96 offset1:252
	ds_read2_b32 v[5:6], v16 offset1:156
	v_add_u32_e32 v47, 0x400, v16
	ds_read2_b32 v[11:12], v46 offset0:48 offset1:204
	ds_read2_b32 v[24:25], v47 offset0:56 offset1:212
	v_mul_u32_u24_e32 v27, 0x68, v27
	v_mul_u32_u24_e32 v29, 0x68, v29
	;; [unrolled: 1-line block ×5, first 2 shown]
	v_add3_u32 v27, 0, v27, v36
	v_add3_u32 v29, 0, v29, v37
	;; [unrolled: 1-line block ×5, first 2 shown]
	s_mov_b32 s2, 0xffff
	s_waitcnt vmcnt(0) lgkmcnt(0)
	s_barrier
	s_movk_i32 s5, 0x3b9c
	s_mov_b32 s3, 0xb8b4
	s_movk_i32 s6, 0x38b4
	s_movk_i32 s4, 0x34f2
	v_cmp_gt_u32_e32 vcc, 52, v0
	v_pk_mul_f16 v36, v41, v10 op_sel:[0,1]
	v_pk_mul_f16 v37, v42, v9 op_sel:[0,1]
	;; [unrolled: 1-line block ×5, first 2 shown]
	v_pk_fma_f16 v48, v41, v10, v36 op_sel:[0,0,1] op_sel_hi:[1,1,0]
	v_pk_fma_f16 v10, v41, v10, v36 op_sel:[0,0,1] op_sel_hi:[1,0,0] neg_lo:[1,0,0] neg_hi:[1,0,0]
	v_pk_fma_f16 v36, v42, v9, v37 op_sel:[0,0,1] op_sel_hi:[1,1,0]
	v_pk_fma_f16 v9, v42, v9, v37 op_sel:[0,0,1] op_sel_hi:[1,0,0] neg_lo:[1,0,0] neg_hi:[1,0,0]
	;; [unrolled: 2-line block ×5, first 2 shown]
	v_bfi_b32 v8, s2, v37, v8
	v_bfi_b32 v12, s2, v39, v12
	;; [unrolled: 1-line block ×5, first 2 shown]
	v_pk_add_f16 v8, v24, v8 neg_lo:[0,1] neg_hi:[0,1]
	v_pk_add_f16 v12, v5, v12 neg_lo:[0,1] neg_hi:[0,1]
	;; [unrolled: 1-line block ×5, first 2 shown]
	v_pk_fma_f16 v24, v24, 2.0, v8 op_sel_hi:[1,0,1] neg_lo:[0,0,1] neg_hi:[0,0,1]
	v_pk_fma_f16 v5, v5, 2.0, v12 op_sel_hi:[1,0,1] neg_lo:[0,0,1] neg_hi:[0,0,1]
	;; [unrolled: 1-line block ×5, first 2 shown]
	ds_write2_b32 v27, v5, v12 offset1:13
	ds_write2_b32 v29, v6, v7 offset1:13
	;; [unrolled: 1-line block ×5, first 2 shown]
	v_lshrrev_b32_e32 v24, 19, v34
	v_lshrrev_b16_e32 v5, 11, v26
	v_lshrrev_b32_e32 v7, 19, v28
	v_lshrrev_b32_e32 v9, 19, v30
	;; [unrolled: 1-line block ×3, first 2 shown]
	v_mul_lo_u16_e32 v25, 26, v24
	v_mul_lo_u16_e32 v6, 26, v5
	;; [unrolled: 1-line block ×5, first 2 shown]
	v_sub_u16_e32 v13, v13, v25
	v_sub_u16_e32 v6, v0, v6
	;; [unrolled: 1-line block ×5, first 2 shown]
	v_lshlrev_b32_e32 v13, 2, v13
	s_waitcnt lgkmcnt(0)
	s_barrier
	v_lshlrev_b32_sdwa v6, v4, v6 dst_sel:DWORD dst_unused:UNUSED_PAD src0_sel:DWORD src1_sel:BYTE_0
	v_lshlrev_b32_e32 v8, 2, v8
	v_lshlrev_b32_e32 v10, 2, v10
	v_lshlrev_b32_e32 v12, 2, v12
	global_load_dword v27, v13, s[8:9] offset:52
	global_load_dword v28, v12, s[8:9] offset:52
	;; [unrolled: 1-line block ×5, first 2 shown]
	v_mul_u32_u24_e32 v5, 0xd0, v5
	v_mul_u32_u24_e32 v7, 0xd0, v7
	;; [unrolled: 1-line block ×5, first 2 shown]
	v_add3_u32 v32, 0, v5, v6
	v_add3_u32 v33, 0, v7, v8
	;; [unrolled: 1-line block ×5, first 2 shown]
	ds_read2_b32 v[5:6], v16 offset1:156
	ds_read2_b32 v[7:8], v46 offset0:48 offset1:204
	ds_read2_b32 v[9:10], v22 offset0:40 offset1:196
	;; [unrolled: 1-line block ×4, first 2 shown]
	s_waitcnt vmcnt(0) lgkmcnt(0)
	s_barrier
	v_pk_mul_f16 v36, v27, v12 op_sel:[0,1]
	v_pk_mul_f16 v37, v28, v11 op_sel:[0,1]
	;; [unrolled: 1-line block ×5, first 2 shown]
	v_pk_fma_f16 v41, v27, v12, v36 op_sel:[0,0,1] op_sel_hi:[1,1,0]
	v_pk_fma_f16 v12, v27, v12, v36 op_sel:[0,0,1] op_sel_hi:[1,0,0] neg_lo:[1,0,0] neg_hi:[1,0,0]
	v_pk_fma_f16 v27, v28, v11, v37 op_sel:[0,0,1] op_sel_hi:[1,1,0]
	v_pk_fma_f16 v11, v28, v11, v37 op_sel:[0,0,1] op_sel_hi:[1,0,0] neg_lo:[1,0,0] neg_hi:[1,0,0]
	;; [unrolled: 2-line block ×5, first 2 shown]
	v_bfi_b32 v8, s2, v30, v8
	v_bfi_b32 v12, s2, v41, v12
	;; [unrolled: 1-line block ×5, first 2 shown]
	v_pk_add_f16 v8, v5, v8 neg_lo:[0,1] neg_hi:[0,1]
	v_pk_add_f16 v12, v7, v12 neg_lo:[0,1] neg_hi:[0,1]
	;; [unrolled: 1-line block ×5, first 2 shown]
	v_pk_fma_f16 v5, v5, 2.0, v8 op_sel_hi:[1,0,1] neg_lo:[0,0,1] neg_hi:[0,0,1]
	v_pk_fma_f16 v7, v7, 2.0, v12 op_sel_hi:[1,0,1] neg_lo:[0,0,1] neg_hi:[0,0,1]
	;; [unrolled: 1-line block ×5, first 2 shown]
	ds_write2_b32 v32, v5, v8 offset1:26
	ds_write2_b32 v33, v6, v9 offset1:26
	;; [unrolled: 1-line block ×5, first 2 shown]
	v_lshrrev_b16_e32 v13, 12, v26
	v_mul_lo_u16_e32 v5, 52, v13
	v_sub_u16_e32 v32, v0, v5
	v_mov_b32_e32 v5, 9
	v_mul_u32_u24_sdwa v5, v32, v5 dst_sel:DWORD dst_unused:UNUSED_PAD src0_sel:BYTE_0 src1_sel:DWORD
	v_lshlrev_b32_e32 v24, 2, v5
	s_waitcnt lgkmcnt(0)
	s_barrier
	global_load_dwordx4 v[5:8], v24, s[8:9] offset:156
	global_load_dwordx4 v[9:12], v24, s[8:9] offset:172
	global_load_dword v33, v24, s[8:9] offset:188
	ds_read2_b32 v[24:25], v16 offset1:156
	ds_read2_b32 v[26:27], v22 offset0:40 offset1:196
	ds_read2_b32 v[28:29], v47 offset0:56 offset1:212
	ds_read2_b32 v[21:22], v21 offset0:96 offset1:252
	ds_read2_b32 v[30:31], v46 offset0:48 offset1:204
	s_waitcnt lgkmcnt(4)
	v_lshrrev_b32_e32 v39, 16, v25
	s_waitcnt lgkmcnt(3)
	v_lshrrev_b32_e32 v35, 16, v26
	v_lshrrev_b32_e32 v36, 16, v27
	s_waitcnt lgkmcnt(1)
	v_lshrrev_b32_e32 v37, 16, v21
	s_waitcnt lgkmcnt(0)
	v_lshrrev_b32_e32 v42, 16, v30
	v_lshrrev_b32_e32 v40, 16, v28
	;; [unrolled: 1-line block ×4, first 2 shown]
	s_mov_b32 s2, 0xbb9c
	v_lshrrev_b32_e32 v34, 16, v24
	v_lshrrev_b32_e32 v43, 16, v31
	v_lshlrev_b32_sdwa v4, v4, v32 dst_sel:DWORD dst_unused:UNUSED_PAD src0_sel:DWORD src1_sel:BYTE_0
	s_waitcnt vmcnt(0)
	s_barrier
	v_mul_f16_sdwa v50, v8, v42 dst_sel:DWORD dst_unused:UNUSED_PAD src0_sel:WORD_1 src1_sel:DWORD
	v_mul_f16_sdwa v54, v35, v10 dst_sel:DWORD dst_unused:UNUSED_PAD src0_sel:DWORD src1_sel:WORD_1
	v_mul_f16_sdwa v46, v6, v40 dst_sel:DWORD dst_unused:UNUSED_PAD src0_sel:WORD_1 src1_sel:DWORD
	v_mul_f16_sdwa v47, v6, v28 dst_sel:DWORD dst_unused:UNUSED_PAD src0_sel:WORD_1 src1_sel:DWORD
	;; [unrolled: 1-line block ×3, first 2 shown]
	v_mul_f16_sdwa v55, v26, v10 dst_sel:DWORD dst_unused:UNUSED_PAD src0_sel:DWORD src1_sel:WORD_1
	v_mul_f16_sdwa v56, v36, v11 dst_sel:DWORD dst_unused:UNUSED_PAD src0_sel:DWORD src1_sel:WORD_1
	;; [unrolled: 1-line block ×5, first 2 shown]
	v_fma_f16 v30, v8, v30, v50
	v_fma_f16 v26, v26, v10, v54
	v_mul_f16_sdwa v44, v5, v39 dst_sel:DWORD dst_unused:UNUSED_PAD src0_sel:WORD_1 src1_sel:DWORD
	v_mul_f16_sdwa v45, v5, v25 dst_sel:DWORD dst_unused:UNUSED_PAD src0_sel:WORD_1 src1_sel:DWORD
	v_fma_f16 v28, v6, v28, v46
	v_fma_f16 v6, v6, v40, -v47
	v_fma_f16 v27, v27, v11, v56
	v_fma_f16 v11, v36, v11, -v57
	;; [unrolled: 2-line block ×3, first 2 shown]
	v_add_f16_e32 v36, v30, v26
	v_mul_f16_sdwa v48, v7, v41 dst_sel:DWORD dst_unused:UNUSED_PAD src0_sel:WORD_1 src1_sel:DWORD
	v_mul_f16_sdwa v49, v7, v29 dst_sel:DWORD dst_unused:UNUSED_PAD src0_sel:WORD_1 src1_sel:DWORD
	v_mul_f16_sdwa v60, v38, v33 dst_sel:DWORD dst_unused:UNUSED_PAD src0_sel:DWORD src1_sel:WORD_1
	v_mul_f16_sdwa v61, v22, v33 dst_sel:DWORD dst_unused:UNUSED_PAD src0_sel:DWORD src1_sel:WORD_1
	v_fma_f16 v25, v5, v25, v44
	v_fma_f16 v5, v5, v39, -v45
	v_fma_f16 v8, v8, v42, -v51
	;; [unrolled: 1-line block ×3, first 2 shown]
	v_sub_f16_e32 v37, v6, v12
	v_sub_f16_e32 v39, v28, v30
	;; [unrolled: 1-line block ×3, first 2 shown]
	v_fma_f16 v36, v36, -0.5, v24
	v_fma_f16 v29, v7, v29, v48
	v_fma_f16 v7, v7, v41, -v49
	v_fma_f16 v22, v22, v33, v60
	v_fma_f16 v33, v38, v33, -v61
	v_add_f16_e32 v35, v24, v28
	v_sub_f16_e32 v38, v8, v10
	v_add_f16_e32 v41, v28, v21
	v_add_f16_e32 v39, v39, v40
	v_fma_f16 v40, v37, s2, v36
	v_fma_f16 v36, v37, s5, v36
	v_add_f16_e32 v35, v35, v30
	v_fma_f16 v40, v38, s3, v40
	v_fma_f16 v36, v38, s6, v36
	v_fma_f16 v24, v41, -0.5, v24
	v_add_f16_e32 v35, v35, v26
	v_fma_f16 v40, v39, s4, v40
	v_fma_f16 v36, v39, s4, v36
	;; [unrolled: 1-line block ×3, first 2 shown]
	v_sub_f16_e32 v41, v30, v28
	v_sub_f16_e32 v42, v26, v21
	v_fma_f16 v24, v38, s2, v24
	v_add_f16_e32 v38, v8, v10
	v_add_f16_e32 v35, v35, v21
	v_fma_f16 v39, v37, s3, v39
	v_add_f16_e32 v41, v41, v42
	v_fma_f16 v24, v37, s6, v24
	v_fma_f16 v38, v38, -0.5, v34
	v_sub_f16_e32 v21, v28, v21
	v_fma_f16 v39, v41, s4, v39
	v_fma_f16 v24, v41, s4, v24
	;; [unrolled: 1-line block ×3, first 2 shown]
	v_sub_f16_e32 v26, v30, v26
	v_sub_f16_e32 v30, v6, v8
	;; [unrolled: 1-line block ×3, first 2 shown]
	v_fma_f16 v38, v21, s2, v38
	v_add_f16_e32 v37, v34, v6
	v_fma_f16 v28, v26, s6, v28
	v_add_f16_e32 v30, v30, v41
	v_fma_f16 v38, v26, s3, v38
	v_mul_f16_sdwa v52, v9, v43 dst_sel:DWORD dst_unused:UNUSED_PAD src0_sel:WORD_1 src1_sel:DWORD
	v_add_f16_e32 v37, v37, v8
	v_fma_f16 v28, v30, s4, v28
	v_fma_f16 v30, v30, s4, v38
	v_add_f16_e32 v38, v6, v12
	v_mul_f16_sdwa v53, v9, v31 dst_sel:DWORD dst_unused:UNUSED_PAD src0_sel:WORD_1 src1_sel:DWORD
	v_fma_f16 v31, v9, v31, v52
	v_add_f16_e32 v37, v37, v10
	v_fma_f16 v34, v38, -0.5, v34
	v_add_f16_e32 v37, v37, v12
	v_fma_f16 v38, v26, s2, v34
	v_sub_f16_e32 v6, v8, v6
	v_sub_f16_e32 v8, v10, v12
	v_fma_f16 v10, v26, s5, v34
	v_add_f16_e32 v12, v31, v27
	v_fma_f16 v9, v9, v43, -v53
	v_fma_f16 v38, v21, s6, v38
	v_add_f16_e32 v6, v6, v8
	v_fma_f16 v10, v21, s3, v10
	v_fma_f16 v12, v12, -0.5, v25
	v_sub_f16_e32 v21, v7, v33
	v_fma_f16 v8, v6, s4, v38
	v_fma_f16 v26, v21, s2, v12
	v_sub_f16_e32 v34, v9, v11
	v_sub_f16_e32 v38, v29, v31
	;; [unrolled: 1-line block ×3, first 2 shown]
	v_fma_f16 v12, v21, s5, v12
	v_fma_f16 v26, v34, s3, v26
	v_add_f16_e32 v38, v38, v41
	v_fma_f16 v12, v34, s6, v12
	v_fma_f16 v6, v6, s4, v10
	v_add_f16_e32 v10, v25, v29
	;; [unrolled: 3-line block ×3, first 2 shown]
	v_add_f16_e32 v10, v10, v31
	v_fma_f16 v25, v38, -0.5, v25
	v_add_f16_e32 v10, v10, v27
	v_fma_f16 v38, v34, s5, v25
	v_sub_f16_e32 v41, v31, v29
	v_sub_f16_e32 v42, v27, v22
	v_fma_f16 v25, v34, s2, v25
	v_add_f16_e32 v34, v9, v11
	v_add_f16_e32 v10, v10, v22
	v_fma_f16 v38, v21, s3, v38
	v_add_f16_e32 v41, v41, v42
	v_fma_f16 v21, v21, s6, v25
	v_fma_f16 v34, v34, -0.5, v5
	v_sub_f16_e32 v22, v29, v22
	v_fma_f16 v38, v41, s4, v38
	v_fma_f16 v21, v41, s4, v21
	;; [unrolled: 1-line block ×3, first 2 shown]
	v_sub_f16_e32 v27, v31, v27
	v_sub_f16_e32 v31, v7, v9
	;; [unrolled: 1-line block ×3, first 2 shown]
	v_fma_f16 v34, v22, s2, v34
	v_fma_f16 v29, v27, s6, v29
	v_add_f16_e32 v31, v31, v41
	v_fma_f16 v34, v27, s3, v34
	v_fma_f16 v29, v31, s4, v29
	;; [unrolled: 1-line block ×3, first 2 shown]
	v_add_f16_e32 v34, v7, v33
	v_add_f16_e32 v25, v5, v7
	v_fma_f16 v5, v34, -0.5, v5
	v_add_f16_e32 v25, v25, v9
	v_fma_f16 v34, v27, s2, v5
	v_sub_f16_e32 v7, v9, v7
	v_sub_f16_e32 v9, v11, v33
	v_fma_f16 v5, v27, s5, v5
	v_add_f16_e32 v7, v7, v9
	v_fma_f16 v5, v22, s3, v5
	v_fma_f16 v34, v22, s6, v34
	v_fma_f16 v5, v7, s4, v5
	v_add_f16_e32 v25, v25, v11
	v_fma_f16 v9, v7, s4, v34
	v_mul_f16_e32 v11, 0xb8b4, v29
	s_movk_i32 s2, 0x3a79
	v_mul_f16_e32 v34, 0xbb9c, v5
	v_mul_f16_e32 v29, 0x3a79, v29
	;; [unrolled: 1-line block ×3, first 2 shown]
	v_add_f16_e32 v25, v25, v33
	v_fma_f16 v11, v26, s2, v11
	v_mul_f16_e32 v22, 0xbb9c, v9
	s_mov_b32 s2, 0xb4f2
	v_fma_f16 v26, v26, s6, v29
	v_mul_f16_e32 v9, 0x34f2, v9
	v_fma_f16 v5, v21, s5, v5
	v_add_f16_e32 v7, v35, v10
	v_add_f16_e32 v27, v40, v11
	v_fma_f16 v22, v38, s4, v22
	v_fma_f16 v34, v21, s2, v34
	v_mul_f16_e32 v42, 0xb8b4, v31
	s_mov_b32 s2, 0xba79
	v_add_f16_e32 v44, v37, v25
	v_add_f16_e32 v29, v28, v26
	v_fma_f16 v9, v38, s5, v9
	v_add_f16_e32 v45, v6, v5
	v_mul_f16_e32 v21, 0xba79, v31
	v_sub_f16_e32 v5, v6, v5
	v_mul_u32_u24_e32 v6, 0x820, v13
	v_add_f16_e32 v33, v39, v22
	v_add_f16_e32 v41, v24, v34
	v_fma_f16 v42, v12, s2, v42
	v_add_f16_e32 v38, v8, v9
	v_fma_f16 v12, v12, s6, v21
	v_add3_u32 v4, 0, v6, v4
	v_pack_b32_f16 v6, v7, v44
	v_pack_b32_f16 v7, v27, v29
	v_add_f16_e32 v43, v36, v42
	v_add_f16_e32 v31, v30, v12
	v_sub_f16_e32 v10, v35, v10
	v_sub_f16_e32 v25, v37, v25
	ds_write2_b32 v4, v6, v7 offset1:52
	v_pack_b32_f16 v6, v33, v38
	v_pack_b32_f16 v7, v41, v45
	v_sub_f16_e32 v11, v40, v11
	v_sub_f16_e32 v35, v39, v22
	;; [unrolled: 1-line block ×4, first 2 shown]
	ds_write2_b32 v4, v6, v7 offset0:104 offset1:156
	v_pack_b32_f16 v6, v43, v31
	v_pack_b32_f16 v7, v10, v25
	v_add_u32_e32 v9, 0x200, v4
	v_sub_f16_e32 v24, v24, v34
	v_sub_f16_e32 v21, v36, v42
	;; [unrolled: 1-line block ×3, first 2 shown]
	ds_write2_b32 v9, v6, v7 offset0:80 offset1:132
	v_pack_b32_f16 v6, v11, v26
	v_pack_b32_f16 v7, v35, v8
	v_add_u32_e32 v4, 0x400, v4
	ds_write2_b32 v4, v6, v7 offset0:56 offset1:108
	v_pack_b32_f16 v5, v24, v5
	v_pack_b32_f16 v6, v21, v22
	v_add_u32_e32 v24, 0x480, v16
	v_add_u32_e32 v25, 0x1000, v16
	ds_write2_b32 v4, v5, v6 offset0:160 offset1:212
	s_waitcnt lgkmcnt(0)
	s_barrier
	ds_read2_b32 v[6:7], v16 offset1:156
	ds_read2_b32 v[4:5], v24 offset0:24 offset1:232
	ds_read2_b32 v[12:13], v25 offset0:16 offset1:172
	;; [unrolled: 1-line block ×3, first 2 shown]
	ds_read_b32 v20, v16 offset:5408
	s_and_saveexec_b64 s[2:3], vcc
	s_cbranch_execz .LBB0_21
; %bb.20:
	ds_read_b32 v21, v16 offset:1872
	ds_read_b32 v1, v16 offset:6032
	;; [unrolled: 1-line block ×3, first 2 shown]
	s_waitcnt lgkmcnt(2)
	v_lshrrev_b32_e32 v22, 16, v21
	s_waitcnt lgkmcnt(1)
	v_lshrrev_b32_e32 v17, 16, v1
	;; [unrolled: 2-line block ×3, first 2 shown]
.LBB0_21:
	s_or_b64 exec, exec, s[2:3]
	v_lshlrev_b32_e32 v8, 1, v0
	v_mov_b32_e32 v9, 0
	v_lshlrev_b64 v[26:27], 2, v[8:9]
	v_lshlrev_b32_e32 v8, 1, v23
	v_mov_b32_e32 v32, s9
	v_add_co_u32_e64 v26, s[2:3], s8, v26
	v_lshlrev_b64 v[28:29], 2, v[8:9]
	v_addc_co_u32_e64 v27, s[2:3], v32, v27, s[2:3]
	v_lshlrev_b32_e32 v8, 1, v15
	v_add_co_u32_e64 v28, s[2:3], s8, v28
	v_lshlrev_b64 v[30:31], 2, v[8:9]
	v_addc_co_u32_e64 v29, s[2:3], v32, v29, s[2:3]
	global_load_dwordx2 v[26:27], v[26:27], off offset:2028
	v_add_co_u32_e64 v30, s[2:3], s8, v30
	global_load_dwordx2 v[28:29], v[28:29], off offset:2028
	v_addc_co_u32_e64 v31, s[2:3], v32, v31, s[2:3]
	global_load_dwordx2 v[30:31], v[30:31], off offset:2028
	s_waitcnt lgkmcnt(2)
	v_lshrrev_b32_e32 v36, 16, v12
	v_lshrrev_b32_e32 v37, 16, v5
	;; [unrolled: 1-line block ×3, first 2 shown]
	s_waitcnt lgkmcnt(1)
	v_lshrrev_b32_e32 v35, 16, v10
	v_lshrrev_b32_e32 v8, 16, v6
	s_waitcnt lgkmcnt(0)
	v_lshrrev_b32_e32 v32, 16, v20
	v_lshrrev_b32_e32 v33, 16, v11
	;; [unrolled: 1-line block ×3, first 2 shown]
	s_mov_b32 s4, 0xbaee
	s_movk_i32 s5, 0x3aee
	v_lshrrev_b32_e32 v23, 16, v4
	s_waitcnt vmcnt(0)
	s_barrier
	v_mul_f16_sdwa v38, v26, v37 dst_sel:DWORD dst_unused:UNUSED_PAD src0_sel:WORD_1 src1_sel:DWORD
	v_mul_f16_sdwa v39, v26, v5 dst_sel:DWORD dst_unused:UNUSED_PAD src0_sel:WORD_1 src1_sel:DWORD
	;; [unrolled: 1-line block ×4, first 2 shown]
	v_fma_f16 v5, v26, v5, v38
	v_fma_f16 v26, v26, v37, -v39
	v_fma_f16 v12, v27, v12, v40
	v_fma_f16 v27, v27, v36, -v41
	v_mul_f16_sdwa v36, v28, v35 dst_sel:DWORD dst_unused:UNUSED_PAD src0_sel:WORD_1 src1_sel:DWORD
	v_mul_f16_sdwa v37, v28, v10 dst_sel:DWORD dst_unused:UNUSED_PAD src0_sel:WORD_1 src1_sel:DWORD
	;; [unrolled: 1-line block ×4, first 2 shown]
	v_fma_f16 v10, v28, v10, v36
	v_fma_f16 v28, v28, v35, -v37
	v_fma_f16 v13, v29, v13, v38
	v_fma_f16 v29, v29, v34, -v39
	v_mul_f16_sdwa v34, v30, v33 dst_sel:DWORD dst_unused:UNUSED_PAD src0_sel:WORD_1 src1_sel:DWORD
	v_mul_f16_sdwa v35, v30, v11 dst_sel:DWORD dst_unused:UNUSED_PAD src0_sel:WORD_1 src1_sel:DWORD
	;; [unrolled: 1-line block ×3, first 2 shown]
	v_sub_f16_e32 v40, v26, v27
	v_add_f16_e32 v41, v8, v26
	v_add_f16_e32 v26, v26, v27
	v_mul_f16_sdwa v37, v31, v20 dst_sel:DWORD dst_unused:UNUSED_PAD src0_sel:WORD_1 src1_sel:DWORD
	v_add_f16_e32 v38, v6, v5
	v_add_f16_e32 v39, v5, v12
	v_sub_f16_e32 v5, v5, v12
	v_fma_f16 v11, v30, v11, v34
	v_fma_f16 v30, v30, v33, -v35
	v_fma_f16 v20, v31, v20, v36
	v_fma_f16 v8, v26, -0.5, v8
	v_add_f16_e32 v26, v7, v10
	v_sub_f16_e32 v33, v28, v29
	v_add_f16_e32 v34, v15, v28
	v_add_f16_e32 v28, v28, v29
	v_fma_f16 v31, v31, v32, -v37
	v_add_f16_e32 v32, v10, v13
	v_sub_f16_e32 v10, v10, v13
	v_fma_f16 v36, v5, s5, v8
	v_fma_f16 v5, v5, s4, v8
	v_add_f16_e32 v8, v26, v13
	v_fma_f16 v15, v28, -0.5, v15
	v_add_f16_e32 v26, v4, v11
	v_add_f16_e32 v28, v11, v20
	v_fma_f16 v6, v39, -0.5, v6
	v_fma_f16 v7, v32, -0.5, v7
	v_fma_f16 v32, v10, s5, v15
	v_fma_f16 v10, v10, s4, v15
	v_add_f16_e32 v15, v26, v20
	v_fma_f16 v4, v28, -0.5, v4
	v_sub_f16_e32 v26, v30, v31
	v_fma_f16 v35, v40, s4, v6
	v_fma_f16 v6, v40, s5, v6
	v_add_f16_e32 v13, v34, v29
	v_fma_f16 v29, v33, s4, v7
	v_fma_f16 v7, v33, s5, v7
	;; [unrolled: 1-line block ×4, first 2 shown]
	v_add_f16_e32 v26, v23, v30
	v_add_f16_e32 v30, v30, v31
	;; [unrolled: 1-line block ×5, first 2 shown]
	v_fma_f16 v23, v30, -0.5, v23
	v_sub_f16_e32 v11, v11, v20
	v_pack_b32_f16 v5, v6, v5
	v_pack_b32_f16 v7, v7, v10
	v_fma_f16 v20, v11, s5, v23
	v_fma_f16 v11, v11, s4, v23
	v_pack_b32_f16 v12, v12, v27
	v_pack_b32_f16 v23, v35, v36
	;; [unrolled: 1-line block ×3, first 2 shown]
	ds_write2_b32 v25, v5, v7 offset0:16 offset1:172
	v_pack_b32_f16 v5, v15, v26
	ds_write2_b32 v16, v12, v6 offset1:156
	v_pack_b32_f16 v6, v29, v32
	ds_write2_b32 v24, v5, v23 offset0:24 offset1:232
	v_pack_b32_f16 v5, v28, v20
	v_add_u32_e32 v7, 0xa00, v16
	v_pack_b32_f16 v4, v4, v11
	ds_write2_b32 v7, v6, v5 offset0:36 offset1:192
	ds_write_b32 v16, v4 offset:5408
	s_and_saveexec_b64 s[2:3], vcc
	s_cbranch_execz .LBB0_23
; %bb.22:
	v_subrev_u32_e32 v4, 52, v0
	v_cndmask_b32_e32 v4, v4, v14, vcc
	v_lshlrev_b32_e32 v8, 1, v4
	v_lshlrev_b64 v[4:5], 2, v[8:9]
	v_mov_b32_e32 v6, s9
	v_add_co_u32_e32 v4, vcc, s8, v4
	v_addc_co_u32_e32 v5, vcc, v6, v5, vcc
	global_load_dwordx2 v[4:5], v[4:5], off offset:2028
	s_waitcnt vmcnt(0)
	v_mul_f16_sdwa v6, v1, v5 dst_sel:DWORD dst_unused:UNUSED_PAD src0_sel:DWORD src1_sel:WORD_1
	v_mul_f16_sdwa v7, v18, v4 dst_sel:DWORD dst_unused:UNUSED_PAD src0_sel:DWORD src1_sel:WORD_1
	;; [unrolled: 1-line block ×4, first 2 shown]
	v_fma_f16 v6, v17, v5, -v6
	v_fma_f16 v7, v19, v4, -v7
	v_fma_f16 v4, v18, v4, v8
	v_fma_f16 v1, v1, v5, v9
	v_add_f16_e32 v5, v22, v7
	v_add_f16_e32 v8, v21, v4
	;; [unrolled: 1-line block ×3, first 2 shown]
	v_sub_f16_e32 v10, v4, v1
	v_add_f16_e32 v4, v4, v1
	v_sub_f16_e32 v7, v7, v6
	v_add_f16_e32 v5, v5, v6
	v_add_f16_e32 v1, v8, v1
	v_fma_f16 v6, v9, -0.5, v22
	v_fma_f16 v4, v4, -0.5, v21
	v_fma_f16 v8, v10, s4, v6
	v_fma_f16 v6, v10, s5, v6
	;; [unrolled: 1-line block ×4, first 2 shown]
	v_pack_b32_f16 v1, v1, v5
	ds_write_b32 v16, v1 offset:1872
	v_pack_b32_f16 v1, v4, v6
	v_pack_b32_f16 v4, v9, v8
	ds_write_b32 v16, v1 offset:3952
	ds_write_b32 v16, v4 offset:6032
.LBB0_23:
	s_or_b64 exec, exec, s[2:3]
	s_waitcnt lgkmcnt(0)
	s_barrier
	s_and_saveexec_b64 s[2:3], s[0:1]
	s_cbranch_execz .LBB0_25
; %bb.24:
	v_lshl_add_u32 v6, v0, 2, 0
	v_mov_b32_e32 v1, 0
	ds_read2_b32 v[4:5], v6 offset1:156
	v_mov_b32_e32 v7, s13
	v_add_co_u32_e32 v8, vcc, s12, v2
	v_addc_co_u32_e32 v7, vcc, v7, v3, vcc
	v_lshlrev_b64 v[2:3], 2, v[0:1]
	v_add_co_u32_e32 v2, vcc, v8, v2
	v_addc_co_u32_e32 v3, vcc, v7, v3, vcc
	s_waitcnt lgkmcnt(0)
	global_store_dword v[2:3], v4, off
	v_add_u32_e32 v2, 0x9c, v0
	v_mov_b32_e32 v3, v1
	v_lshlrev_b64 v[2:3], 2, v[2:3]
	v_add_u32_e32 v4, 0x400, v6
	v_add_co_u32_e32 v2, vcc, v8, v2
	v_addc_co_u32_e32 v3, vcc, v7, v3, vcc
	global_store_dword v[2:3], v5, off
	v_add_u32_e32 v2, 0x138, v0
	v_mov_b32_e32 v3, v1
	ds_read2_b32 v[4:5], v4 offset0:56 offset1:212
	v_lshlrev_b64 v[2:3], 2, v[2:3]
	v_add_co_u32_e32 v2, vcc, v8, v2
	v_addc_co_u32_e32 v3, vcc, v7, v3, vcc
	s_waitcnt lgkmcnt(0)
	global_store_dword v[2:3], v4, off
	v_add_u32_e32 v2, 0x1d4, v0
	v_mov_b32_e32 v3, v1
	v_lshlrev_b64 v[2:3], 2, v[2:3]
	v_add_u32_e32 v4, 0x900, v6
	v_add_co_u32_e32 v2, vcc, v8, v2
	v_addc_co_u32_e32 v3, vcc, v7, v3, vcc
	global_store_dword v[2:3], v5, off
	v_add_u32_e32 v2, 0x270, v0
	v_mov_b32_e32 v3, v1
	ds_read2_b32 v[4:5], v4 offset0:48 offset1:204
	;; [unrolled: 15-line block ×3, first 2 shown]
	v_lshlrev_b64 v[2:3], 2, v[2:3]
	v_add_co_u32_e32 v2, vcc, v8, v2
	v_addc_co_u32_e32 v3, vcc, v7, v3, vcc
	s_waitcnt lgkmcnt(0)
	global_store_dword v[2:3], v4, off
	v_add_u32_e32 v2, 0x444, v0
	v_mov_b32_e32 v3, v1
	v_lshlrev_b64 v[2:3], 2, v[2:3]
	v_add_u32_e32 v4, 0x1200, v6
	v_add_co_u32_e32 v2, vcc, v8, v2
	v_addc_co_u32_e32 v3, vcc, v7, v3, vcc
	global_store_dword v[2:3], v5, off
	v_add_u32_e32 v2, 0x4e0, v0
	v_mov_b32_e32 v3, v1
	v_lshlrev_b64 v[2:3], 2, v[2:3]
	ds_read2_b32 v[4:5], v4 offset0:96 offset1:252
	v_add_u32_e32 v0, 0x57c, v0
	v_add_co_u32_e32 v2, vcc, v8, v2
	v_lshlrev_b64 v[0:1], 2, v[0:1]
	v_addc_co_u32_e32 v3, vcc, v7, v3, vcc
	v_add_co_u32_e32 v0, vcc, v8, v0
	v_addc_co_u32_e32 v1, vcc, v7, v1, vcc
	s_waitcnt lgkmcnt(0)
	global_store_dword v[2:3], v4, off
	global_store_dword v[0:1], v5, off
.LBB0_25:
	s_endpgm
	.section	.rodata,"a",@progbits
	.p2align	6, 0x0
	.amdhsa_kernel fft_rtc_back_len1560_factors_13_2_2_10_3_wgs_156_tpt_156_half_ip_CI_unitstride_sbrr_C2R_dirReg
		.amdhsa_group_segment_fixed_size 0
		.amdhsa_private_segment_fixed_size 0
		.amdhsa_kernarg_size 88
		.amdhsa_user_sgpr_count 6
		.amdhsa_user_sgpr_private_segment_buffer 1
		.amdhsa_user_sgpr_dispatch_ptr 0
		.amdhsa_user_sgpr_queue_ptr 0
		.amdhsa_user_sgpr_kernarg_segment_ptr 1
		.amdhsa_user_sgpr_dispatch_id 0
		.amdhsa_user_sgpr_flat_scratch_init 0
		.amdhsa_user_sgpr_private_segment_size 0
		.amdhsa_uses_dynamic_stack 0
		.amdhsa_system_sgpr_private_segment_wavefront_offset 0
		.amdhsa_system_sgpr_workgroup_id_x 1
		.amdhsa_system_sgpr_workgroup_id_y 0
		.amdhsa_system_sgpr_workgroup_id_z 0
		.amdhsa_system_sgpr_workgroup_info 0
		.amdhsa_system_vgpr_workitem_id 0
		.amdhsa_next_free_vgpr 95
		.amdhsa_next_free_sgpr 24
		.amdhsa_reserve_vcc 1
		.amdhsa_reserve_flat_scratch 0
		.amdhsa_float_round_mode_32 0
		.amdhsa_float_round_mode_16_64 0
		.amdhsa_float_denorm_mode_32 3
		.amdhsa_float_denorm_mode_16_64 3
		.amdhsa_dx10_clamp 1
		.amdhsa_ieee_mode 1
		.amdhsa_fp16_overflow 0
		.amdhsa_exception_fp_ieee_invalid_op 0
		.amdhsa_exception_fp_denorm_src 0
		.amdhsa_exception_fp_ieee_div_zero 0
		.amdhsa_exception_fp_ieee_overflow 0
		.amdhsa_exception_fp_ieee_underflow 0
		.amdhsa_exception_fp_ieee_inexact 0
		.amdhsa_exception_int_div_zero 0
	.end_amdhsa_kernel
	.text
.Lfunc_end0:
	.size	fft_rtc_back_len1560_factors_13_2_2_10_3_wgs_156_tpt_156_half_ip_CI_unitstride_sbrr_C2R_dirReg, .Lfunc_end0-fft_rtc_back_len1560_factors_13_2_2_10_3_wgs_156_tpt_156_half_ip_CI_unitstride_sbrr_C2R_dirReg
                                        ; -- End function
	.section	.AMDGPU.csdata,"",@progbits
; Kernel info:
; codeLenInByte = 9672
; NumSgprs: 28
; NumVgprs: 95
; ScratchSize: 0
; MemoryBound: 0
; FloatMode: 240
; IeeeMode: 1
; LDSByteSize: 0 bytes/workgroup (compile time only)
; SGPRBlocks: 3
; VGPRBlocks: 23
; NumSGPRsForWavesPerEU: 28
; NumVGPRsForWavesPerEU: 95
; Occupancy: 2
; WaveLimiterHint : 1
; COMPUTE_PGM_RSRC2:SCRATCH_EN: 0
; COMPUTE_PGM_RSRC2:USER_SGPR: 6
; COMPUTE_PGM_RSRC2:TRAP_HANDLER: 0
; COMPUTE_PGM_RSRC2:TGID_X_EN: 1
; COMPUTE_PGM_RSRC2:TGID_Y_EN: 0
; COMPUTE_PGM_RSRC2:TGID_Z_EN: 0
; COMPUTE_PGM_RSRC2:TIDIG_COMP_CNT: 0
	.type	__hip_cuid_1100efb5f237653e,@object ; @__hip_cuid_1100efb5f237653e
	.section	.bss,"aw",@nobits
	.globl	__hip_cuid_1100efb5f237653e
__hip_cuid_1100efb5f237653e:
	.byte	0                               ; 0x0
	.size	__hip_cuid_1100efb5f237653e, 1

	.ident	"AMD clang version 19.0.0git (https://github.com/RadeonOpenCompute/llvm-project roc-6.4.0 25133 c7fe45cf4b819c5991fe208aaa96edf142730f1d)"
	.section	".note.GNU-stack","",@progbits
	.addrsig
	.addrsig_sym __hip_cuid_1100efb5f237653e
	.amdgpu_metadata
---
amdhsa.kernels:
  - .args:
      - .actual_access:  read_only
        .address_space:  global
        .offset:         0
        .size:           8
        .value_kind:     global_buffer
      - .offset:         8
        .size:           8
        .value_kind:     by_value
      - .actual_access:  read_only
        .address_space:  global
        .offset:         16
        .size:           8
        .value_kind:     global_buffer
      - .actual_access:  read_only
        .address_space:  global
        .offset:         24
        .size:           8
        .value_kind:     global_buffer
      - .offset:         32
        .size:           8
        .value_kind:     by_value
      - .actual_access:  read_only
        .address_space:  global
        .offset:         40
        .size:           8
        .value_kind:     global_buffer
      - .actual_access:  read_only
        .address_space:  global
        .offset:         48
        .size:           8
        .value_kind:     global_buffer
      - .offset:         56
        .size:           4
        .value_kind:     by_value
      - .actual_access:  read_only
        .address_space:  global
        .offset:         64
        .size:           8
        .value_kind:     global_buffer
      - .actual_access:  read_only
        .address_space:  global
        .offset:         72
        .size:           8
        .value_kind:     global_buffer
      - .address_space:  global
        .offset:         80
        .size:           8
        .value_kind:     global_buffer
    .group_segment_fixed_size: 0
    .kernarg_segment_align: 8
    .kernarg_segment_size: 88
    .language:       OpenCL C
    .language_version:
      - 2
      - 0
    .max_flat_workgroup_size: 156
    .name:           fft_rtc_back_len1560_factors_13_2_2_10_3_wgs_156_tpt_156_half_ip_CI_unitstride_sbrr_C2R_dirReg
    .private_segment_fixed_size: 0
    .sgpr_count:     28
    .sgpr_spill_count: 0
    .symbol:         fft_rtc_back_len1560_factors_13_2_2_10_3_wgs_156_tpt_156_half_ip_CI_unitstride_sbrr_C2R_dirReg.kd
    .uniform_work_group_size: 1
    .uses_dynamic_stack: false
    .vgpr_count:     95
    .vgpr_spill_count: 0
    .wavefront_size: 64
amdhsa.target:   amdgcn-amd-amdhsa--gfx906
amdhsa.version:
  - 1
  - 2
...

	.end_amdgpu_metadata
